;; amdgpu-corpus repo=ROCm/rocFFT kind=compiled arch=gfx906 opt=O3
	.text
	.amdgcn_target "amdgcn-amd-amdhsa--gfx906"
	.amdhsa_code_object_version 6
	.protected	fft_rtc_fwd_len50_factors_10_5_wgs_250_tpt_10_sp_ip_CI_sbcc_twdbase8_3step ; -- Begin function fft_rtc_fwd_len50_factors_10_5_wgs_250_tpt_10_sp_ip_CI_sbcc_twdbase8_3step
	.globl	fft_rtc_fwd_len50_factors_10_5_wgs_250_tpt_10_sp_ip_CI_sbcc_twdbase8_3step
	.p2align	8
	.type	fft_rtc_fwd_len50_factors_10_5_wgs_250_tpt_10_sp_ip_CI_sbcc_twdbase8_3step,@function
fft_rtc_fwd_len50_factors_10_5_wgs_250_tpt_10_sp_ip_CI_sbcc_twdbase8_3step: ; @fft_rtc_fwd_len50_factors_10_5_wgs_250_tpt_10_sp_ip_CI_sbcc_twdbase8_3step
; %bb.0:
	s_load_dwordx4 s[0:3], s[4:5], 0x18
	s_mov_b32 s7, 0
	s_mov_b64 s[24:25], 0
	s_waitcnt lgkmcnt(0)
	s_load_dwordx2 s[20:21], s[0:1], 0x8
	s_waitcnt lgkmcnt(0)
	s_add_u32 s8, s20, -1
	s_addc_u32 s9, s21, -1
	s_add_u32 s10, 0, 0xd7093700
	s_addc_u32 s11, 0, 51
	s_mul_hi_u32 s13, s10, 0xffffffe7
	s_add_i32 s11, s11, 0xa3d7070
	s_sub_i32 s13, s13, s10
	s_mul_i32 s16, s11, 0xffffffe7
	s_mul_i32 s12, s10, 0xffffffe7
	s_add_i32 s13, s13, s16
	s_mul_hi_u32 s14, s11, s12
	s_mul_i32 s15, s11, s12
	s_mul_i32 s17, s10, s13
	s_mul_hi_u32 s12, s10, s12
	s_mul_hi_u32 s16, s10, s13
	s_add_u32 s12, s12, s17
	s_addc_u32 s16, 0, s16
	s_add_u32 s12, s12, s15
	s_mul_hi_u32 s17, s11, s13
	s_addc_u32 s12, s16, s14
	s_addc_u32 s14, s17, 0
	s_mul_i32 s13, s11, s13
	s_add_u32 s12, s12, s13
	v_mov_b32_e32 v1, s12
	s_addc_u32 s13, 0, s14
	v_add_co_u32_e32 v1, vcc, s10, v1
	s_cmp_lg_u64 vcc, 0
	s_addc_u32 s10, s11, s13
	v_readfirstlane_b32 s13, v1
	s_mul_i32 s12, s8, s10
	s_mul_hi_u32 s14, s8, s13
	s_mul_hi_u32 s11, s8, s10
	s_add_u32 s12, s14, s12
	s_addc_u32 s11, 0, s11
	s_mul_hi_u32 s15, s9, s13
	s_mul_i32 s13, s9, s13
	s_add_u32 s12, s12, s13
	s_mul_hi_u32 s14, s9, s10
	s_addc_u32 s11, s11, s15
	s_addc_u32 s12, s14, 0
	s_mul_i32 s10, s9, s10
	s_add_u32 s10, s11, s10
	s_addc_u32 s11, 0, s12
	s_add_u32 s12, s10, 1
	s_addc_u32 s13, s11, 0
	s_add_u32 s14, s10, 2
	s_mul_i32 s16, s11, 25
	s_mul_hi_u32 s17, s10, 25
	s_addc_u32 s15, s11, 0
	s_add_i32 s17, s17, s16
	s_mul_i32 s16, s10, 25
	v_mov_b32_e32 v1, s16
	v_sub_co_u32_e32 v1, vcc, s8, v1
	s_cmp_lg_u64 vcc, 0
	s_subb_u32 s8, s9, s17
	v_subrev_co_u32_e32 v2, vcc, 25, v1
	s_cmp_lg_u64 vcc, 0
	s_subb_u32 s9, s8, 0
	v_readfirstlane_b32 s16, v2
	s_cmp_gt_u32 s16, 24
	s_cselect_b32 s16, -1, 0
	s_cmp_eq_u32 s9, 0
	s_cselect_b32 s9, s16, -1
	s_cmp_lg_u32 s9, 0
	s_cselect_b32 s9, s14, s12
	s_cselect_b32 s12, s15, s13
	v_readfirstlane_b32 s13, v1
	s_cmp_gt_u32 s13, 24
	s_cselect_b32 s13, -1, 0
	s_cmp_eq_u32 s8, 0
	s_cselect_b32 s8, s13, -1
	s_cmp_lg_u32 s8, 0
	s_cselect_b32 s9, s9, s10
	s_cselect_b32 s8, s12, s11
	s_add_u32 s22, s9, 1
	s_addc_u32 s23, s8, 0
	v_mov_b32_e32 v1, s22
	v_mov_b32_e32 v2, s23
	v_cmp_lt_u64_e32 vcc, s[6:7], v[1:2]
	s_cbranch_vccnz .LBB0_2
; %bb.1:
	v_cvt_f32_u32_e32 v1, s22
	s_sub_i32 s8, 0, s22
	s_mov_b32 s25, s7
	v_rcp_iflag_f32_e32 v1, v1
	v_mul_f32_e32 v1, 0x4f7ffffe, v1
	v_cvt_u32_f32_e32 v1, v1
	v_readfirstlane_b32 s9, v1
	s_mul_i32 s8, s8, s9
	s_mul_hi_u32 s8, s9, s8
	s_add_i32 s9, s9, s8
	s_mul_hi_u32 s8, s6, s9
	s_mul_i32 s10, s8, s22
	s_sub_i32 s10, s6, s10
	s_add_i32 s9, s8, 1
	s_sub_i32 s11, s10, s22
	s_cmp_ge_u32 s10, s22
	s_cselect_b32 s8, s9, s8
	s_cselect_b32 s10, s11, s10
	s_add_i32 s9, s8, 1
	s_cmp_ge_u32 s10, s22
	s_cselect_b32 s24, s9, s8
.LBB0_2:
	s_load_dwordx2 s[16:17], s[4:5], 0x58
	s_load_dwordx4 s[8:11], s[2:3], 0x0
	s_load_dwordx2 s[18:19], s[4:5], 0x0
	s_load_dwordx4 s[12:15], s[4:5], 0x8
	s_mul_i32 s4, s24, s23
	s_mul_hi_u32 s5, s24, s22
	s_add_i32 s5, s5, s4
	s_mul_i32 s4, s24, s22
	s_sub_u32 s38, s6, s4
	s_subb_u32 s4, 0, s5
	s_mul_i32 s4, s4, 25
	s_mul_hi_u32 s33, s38, 25
	s_add_i32 s33, s33, s4
	s_mul_i32 s38, s38, 25
	s_waitcnt lgkmcnt(0)
	s_mul_i32 s4, s10, s33
	s_mul_hi_u32 s5, s10, s38
	s_add_i32 s4, s5, s4
	s_mul_i32 s5, s11, s38
	s_add_i32 s39, s4, s5
	v_cmp_lt_u64_e64 s[4:5], s[14:15], 3
	s_mul_i32 s40, s10, s38
	s_and_b64 vcc, exec, s[4:5]
	s_cbranch_vccnz .LBB0_12
; %bb.3:
	s_add_u32 s4, s2, 16
	s_addc_u32 s5, s3, 0
	s_add_u32 s26, s0, 16
	v_mov_b32_e32 v1, s14
	s_addc_u32 s27, s1, 0
	s_mov_b64 s[28:29], 2
	s_mov_b32 s30, 0
	v_mov_b32_e32 v2, s15
.LBB0_4:                                ; =>This Inner Loop Header: Depth=1
	s_load_dwordx2 s[34:35], s[26:27], 0x0
	s_waitcnt lgkmcnt(0)
	s_or_b64 s[0:1], s[24:25], s[34:35]
	s_mov_b32 s31, s1
	s_cmp_lg_u64 s[30:31], 0
	s_cbranch_scc0 .LBB0_9
; %bb.5:                                ;   in Loop: Header=BB0_4 Depth=1
	v_cvt_f32_u32_e32 v3, s34
	v_cvt_f32_u32_e32 v4, s35
	s_sub_u32 s0, 0, s34
	s_subb_u32 s1, 0, s35
	v_mac_f32_e32 v3, 0x4f800000, v4
	v_rcp_f32_e32 v3, v3
	v_mul_f32_e32 v3, 0x5f7ffffc, v3
	v_mul_f32_e32 v4, 0x2f800000, v3
	v_trunc_f32_e32 v4, v4
	v_mac_f32_e32 v3, 0xcf800000, v4
	v_cvt_u32_f32_e32 v4, v4
	v_cvt_u32_f32_e32 v3, v3
	v_readfirstlane_b32 s31, v4
	v_readfirstlane_b32 s36, v3
	s_mul_i32 s37, s0, s31
	s_mul_hi_u32 s42, s0, s36
	s_mul_i32 s41, s1, s36
	s_add_i32 s37, s42, s37
	s_mul_i32 s43, s0, s36
	s_add_i32 s37, s37, s41
	s_mul_hi_u32 s41, s36, s37
	s_mul_i32 s42, s36, s37
	s_mul_hi_u32 s36, s36, s43
	s_add_u32 s36, s36, s42
	s_addc_u32 s41, 0, s41
	s_mul_hi_u32 s44, s31, s43
	s_mul_i32 s43, s31, s43
	s_add_u32 s36, s36, s43
	s_mul_hi_u32 s42, s31, s37
	s_addc_u32 s36, s41, s44
	s_addc_u32 s41, s42, 0
	s_mul_i32 s37, s31, s37
	s_add_u32 s36, s36, s37
	s_addc_u32 s37, 0, s41
	v_add_co_u32_e32 v3, vcc, s36, v3
	s_cmp_lg_u64 vcc, 0
	s_addc_u32 s31, s31, s37
	v_readfirstlane_b32 s37, v3
	s_mul_i32 s36, s0, s31
	s_mul_hi_u32 s41, s0, s37
	s_add_i32 s36, s41, s36
	s_mul_i32 s1, s1, s37
	s_add_i32 s36, s36, s1
	s_mul_i32 s0, s0, s37
	s_mul_hi_u32 s41, s31, s0
	s_mul_i32 s42, s31, s0
	s_mul_i32 s44, s37, s36
	s_mul_hi_u32 s0, s37, s0
	s_mul_hi_u32 s43, s37, s36
	s_add_u32 s0, s0, s44
	s_addc_u32 s37, 0, s43
	s_add_u32 s0, s0, s42
	s_mul_hi_u32 s1, s31, s36
	s_addc_u32 s0, s37, s41
	s_addc_u32 s1, s1, 0
	s_mul_i32 s36, s31, s36
	s_add_u32 s0, s0, s36
	s_addc_u32 s1, 0, s1
	v_add_co_u32_e32 v3, vcc, s0, v3
	s_cmp_lg_u64 vcc, 0
	s_addc_u32 s0, s31, s1
	v_readfirstlane_b32 s36, v3
	s_mul_i32 s31, s24, s0
	s_mul_hi_u32 s37, s24, s36
	s_mul_hi_u32 s1, s24, s0
	s_add_u32 s31, s37, s31
	s_addc_u32 s1, 0, s1
	s_mul_hi_u32 s41, s25, s36
	s_mul_i32 s36, s25, s36
	s_add_u32 s31, s31, s36
	s_mul_hi_u32 s37, s25, s0
	s_addc_u32 s1, s1, s41
	s_addc_u32 s31, s37, 0
	s_mul_i32 s0, s25, s0
	s_add_u32 s36, s1, s0
	s_addc_u32 s31, 0, s31
	s_mul_i32 s0, s34, s31
	s_mul_hi_u32 s1, s34, s36
	s_add_i32 s0, s1, s0
	s_mul_i32 s1, s35, s36
	s_add_i32 s37, s0, s1
	s_mul_i32 s1, s34, s36
	v_mov_b32_e32 v3, s1
	s_sub_i32 s0, s25, s37
	v_sub_co_u32_e32 v3, vcc, s24, v3
	s_cmp_lg_u64 vcc, 0
	s_subb_u32 s41, s0, s35
	v_subrev_co_u32_e64 v4, s[0:1], s34, v3
	s_cmp_lg_u64 s[0:1], 0
	s_subb_u32 s0, s41, 0
	s_cmp_ge_u32 s0, s35
	v_readfirstlane_b32 s41, v4
	s_cselect_b32 s1, -1, 0
	s_cmp_ge_u32 s41, s34
	s_cselect_b32 s41, -1, 0
	s_cmp_eq_u32 s0, s35
	s_cselect_b32 s0, s41, s1
	s_add_u32 s1, s36, 1
	s_addc_u32 s41, s31, 0
	s_add_u32 s42, s36, 2
	s_addc_u32 s43, s31, 0
	s_cmp_lg_u32 s0, 0
	s_cselect_b32 s0, s42, s1
	s_cselect_b32 s1, s43, s41
	s_cmp_lg_u64 vcc, 0
	s_subb_u32 s37, s25, s37
	s_cmp_ge_u32 s37, s35
	v_readfirstlane_b32 s42, v3
	s_cselect_b32 s41, -1, 0
	s_cmp_ge_u32 s42, s34
	s_cselect_b32 s42, -1, 0
	s_cmp_eq_u32 s37, s35
	s_cselect_b32 s37, s42, s41
	s_cmp_lg_u32 s37, 0
	s_cselect_b32 s1, s1, s31
	s_cselect_b32 s0, s0, s36
	s_cbranch_execnz .LBB0_7
.LBB0_6:                                ;   in Loop: Header=BB0_4 Depth=1
	v_cvt_f32_u32_e32 v3, s34
	s_sub_i32 s0, 0, s34
	v_rcp_iflag_f32_e32 v3, v3
	v_mul_f32_e32 v3, 0x4f7ffffe, v3
	v_cvt_u32_f32_e32 v3, v3
	v_readfirstlane_b32 s1, v3
	s_mul_i32 s0, s0, s1
	s_mul_hi_u32 s0, s1, s0
	s_add_i32 s1, s1, s0
	s_mul_hi_u32 s0, s24, s1
	s_mul_i32 s31, s0, s34
	s_sub_i32 s31, s24, s31
	s_add_i32 s1, s0, 1
	s_sub_i32 s36, s31, s34
	s_cmp_ge_u32 s31, s34
	s_cselect_b32 s0, s1, s0
	s_cselect_b32 s31, s36, s31
	s_add_i32 s1, s0, 1
	s_cmp_ge_u32 s31, s34
	s_cselect_b32 s0, s1, s0
	s_mov_b32 s1, s30
.LBB0_7:                                ;   in Loop: Header=BB0_4 Depth=1
	s_mul_i32 s23, s34, s23
	s_mul_hi_u32 s31, s34, s22
	s_add_i32 s23, s31, s23
	s_mul_i32 s31, s35, s22
	s_add_i32 s23, s23, s31
	s_mul_i32 s31, s0, s35
	s_mul_hi_u32 s35, s0, s34
	s_load_dwordx2 s[36:37], s[4:5], 0x0
	s_add_i32 s31, s35, s31
	s_mul_i32 s35, s1, s34
	s_mul_i32 s22, s34, s22
	s_add_i32 s31, s31, s35
	s_mul_i32 s34, s0, s34
	s_sub_u32 s24, s24, s34
	s_subb_u32 s25, s25, s31
	s_waitcnt lgkmcnt(0)
	s_mul_i32 s25, s36, s25
	s_mul_hi_u32 s31, s36, s24
	s_add_i32 s25, s31, s25
	s_mul_i32 s31, s37, s24
	s_add_i32 s25, s25, s31
	s_mul_i32 s24, s36, s24
	s_add_u32 s40, s24, s40
	s_addc_u32 s39, s25, s39
	s_add_u32 s28, s28, 1
	s_addc_u32 s29, s29, 0
	;; [unrolled: 2-line block ×3, first 2 shown]
	v_cmp_ge_u64_e32 vcc, s[28:29], v[1:2]
	s_add_u32 s26, s26, 8
	s_addc_u32 s27, s27, 0
	s_cbranch_vccnz .LBB0_10
; %bb.8:                                ;   in Loop: Header=BB0_4 Depth=1
	s_mov_b64 s[24:25], s[0:1]
	s_branch .LBB0_4
.LBB0_9:                                ;   in Loop: Header=BB0_4 Depth=1
                                        ; implicit-def: $sgpr0_sgpr1
	s_branch .LBB0_6
.LBB0_10:
	v_mov_b32_e32 v1, s22
	v_mov_b32_e32 v2, s23
	v_cmp_lt_u64_e32 vcc, s[6:7], v[1:2]
	s_mov_b64 s[24:25], 0
	s_cbranch_vccnz .LBB0_12
; %bb.11:
	v_cvt_f32_u32_e32 v1, s22
	s_sub_i32 s0, 0, s22
	v_rcp_iflag_f32_e32 v1, v1
	v_mul_f32_e32 v1, 0x4f7ffffe, v1
	v_cvt_u32_f32_e32 v1, v1
	v_readfirstlane_b32 s1, v1
	s_mul_i32 s0, s0, s1
	s_mul_hi_u32 s0, s1, s0
	s_add_i32 s1, s1, s0
	s_mul_hi_u32 s0, s6, s1
	s_mul_i32 s4, s0, s22
	s_sub_i32 s4, s6, s4
	s_add_i32 s1, s0, 1
	s_sub_i32 s5, s4, s22
	s_cmp_ge_u32 s4, s22
	s_cselect_b32 s0, s1, s0
	s_cselect_b32 s4, s5, s4
	s_add_i32 s1, s0, 1
	s_cmp_ge_u32 s4, s22
	s_cselect_b32 s24, s1, s0
.LBB0_12:
	s_lshl_b64 s[0:1], s[14:15], 3
	s_add_u32 s0, s2, s0
	s_addc_u32 s1, s3, s1
	s_load_dwordx2 s[0:1], s[0:1], 0x0
	v_mov_b32_e32 v1, s20
	v_mul_u32_u24_e32 v3, 0xa3e, v0
	v_mov_b32_e32 v2, s21
	v_lshrrev_b32_e32 v25, 16, v3
	s_waitcnt lgkmcnt(0)
	s_mul_i32 s1, s1, s24
	s_mul_hi_u32 s2, s0, s24
	s_mul_i32 s0, s0, s24
	s_add_i32 s1, s2, s1
	s_add_u32 s2, s0, s40
	s_addc_u32 s3, s1, s39
	s_add_u32 s0, s38, 25
	s_addc_u32 s1, s33, 0
	v_cmp_le_u64_e32 vcc, s[0:1], v[1:2]
	v_mul_lo_u16_e32 v1, 25, v25
	v_sub_u16_e32 v24, v0, v1
	v_mov_b32_e32 v2, s33
	v_add_co_u32_e64 v1, s[0:1], s38, v24
	v_addc_co_u32_e64 v2, s[0:1], 0, v2, s[0:1]
	v_cmp_gt_u64_e64 s[0:1], s[20:21], v[1:2]
	v_lshlrev_b32_e32 v26, 3, v25
	s_or_b64 s[0:1], vcc, s[0:1]
	v_add_u32_e32 v23, 10, v25
	v_add_u32_e32 v22, 20, v25
	;; [unrolled: 1-line block ×4, first 2 shown]
	s_and_saveexec_b64 s[4:5], s[0:1]
	s_cbranch_execz .LBB0_14
; %bb.13:
	v_mad_u64_u32 v[1:2], s[6:7], s10, v24, 0
	v_mad_u64_u32 v[3:4], s[6:7], s8, v25, 0
	;; [unrolled: 1-line block ×3, first 2 shown]
	v_mov_b32_e32 v2, v4
	v_mad_u64_u32 v[6:7], s[6:7], s9, v25, v[2:3]
	s_lshl_b64 s[6:7], s[2:3], 3
	s_add_u32 s14, s16, s6
	s_addc_u32 s6, s17, s7
	v_mov_b32_e32 v2, v5
	v_mov_b32_e32 v4, v6
	;; [unrolled: 1-line block ×3, first 2 shown]
	v_mad_u64_u32 v[5:6], s[6:7], s8, v23, 0
	v_lshlrev_b64 v[1:2], 3, v[1:2]
	v_mad_u64_u32 v[9:10], s[6:7], s8, v21, 0
	v_add_co_u32_e32 v19, vcc, s14, v1
	v_addc_co_u32_e32 v27, vcc, v7, v2, vcc
	v_lshlrev_b64 v[1:2], 3, v[3:4]
	v_mov_b32_e32 v3, v6
	v_mad_u64_u32 v[3:4], s[6:7], s9, v23, v[3:4]
	v_mad_u64_u32 v[7:8], s[6:7], s8, v22, 0
	v_mov_b32_e32 v6, v3
	v_lshlrev_b64 v[3:4], 3, v[5:6]
	v_mov_b32_e32 v5, v8
	v_mad_u64_u32 v[5:6], s[6:7], s9, v22, v[5:6]
	v_mad_u64_u32 v[11:12], s[6:7], s8, v20, 0
	v_mov_b32_e32 v8, v5
	v_lshlrev_b64 v[5:6], 3, v[7:8]
	v_mov_b32_e32 v7, v10
	v_mad_u64_u32 v[7:8], s[6:7], s9, v21, v[7:8]
	v_add_co_u32_e32 v1, vcc, v19, v1
	v_mov_b32_e32 v10, v7
	v_addc_co_u32_e32 v2, vcc, v27, v2, vcc
	v_lshlrev_b64 v[7:8], 3, v[9:10]
	v_mov_b32_e32 v9, v12
	v_add_co_u32_e32 v3, vcc, v19, v3
	v_mad_u64_u32 v[9:10], s[6:7], s9, v20, v[9:10]
	v_addc_co_u32_e32 v4, vcc, v27, v4, vcc
	v_add_co_u32_e32 v5, vcc, v19, v5
	v_addc_co_u32_e32 v6, vcc, v27, v6, vcc
	v_add_co_u32_e32 v7, vcc, v19, v7
	v_mov_b32_e32 v12, v9
	v_addc_co_u32_e32 v8, vcc, v27, v8, vcc
	global_load_dwordx2 v[9:10], v[1:2], off
	global_load_dwordx2 v[13:14], v[3:4], off
	;; [unrolled: 1-line block ×4, first 2 shown]
	v_lshlrev_b64 v[1:2], 3, v[11:12]
	v_mul_u32_u24_e32 v3, 0x190, v24
	v_add_co_u32_e32 v1, vcc, v19, v1
	v_addc_co_u32_e32 v2, vcc, v27, v2, vcc
	global_load_dwordx2 v[1:2], v[1:2], off
	v_add3_u32 v3, 0, v3, v26
	s_waitcnt vmcnt(3)
	ds_write2_b64 v3, v[9:10], v[13:14] offset1:10
	s_waitcnt vmcnt(1)
	ds_write2_b64 v3, v[15:16], v[17:18] offset0:20 offset1:30
	s_waitcnt vmcnt(0)
	ds_write_b64 v3, v[1:2] offset:320
.LBB0_14:
	s_or_b64 exec, exec, s[4:5]
	s_movk_i32 s4, 0x199a
	v_mul_u32_u24_sdwa v1, v0, s4 dst_sel:DWORD dst_unused:UNUSED_PAD src0_sel:WORD_0 src1_sel:DWORD
	s_add_u32 s4, 0, 0xd7093700
	s_addc_u32 s5, 0, 51
	s_add_i32 s5, s5, 0xa3d7070
	s_mul_hi_u32 s15, s4, 0xffffffe7
	s_sub_i32 s15, s15, s4
	s_mul_i32 s20, s5, 0xffffffe7
	s_mul_i32 s6, s4, 0xffffffe7
	s_add_i32 s15, s15, s20
	s_mul_hi_u32 s7, s5, s6
	s_mul_i32 s14, s5, s6
	s_mul_i32 s21, s4, s15
	s_mul_hi_u32 s6, s4, s6
	s_mul_hi_u32 s20, s4, s15
	s_add_u32 s6, s6, s21
	s_addc_u32 s20, 0, s20
	s_add_u32 s6, s6, s14
	s_mul_hi_u32 s21, s5, s15
	s_addc_u32 s6, s20, s7
	v_lshrrev_b32_e32 v5, 16, v1
	s_addc_u32 s7, s21, 0
	s_mul_i32 s14, s5, s15
	v_mov_b32_e32 v1, s33
	v_add_co_u32_e32 v28, vcc, s38, v5
	s_add_u32 s6, s6, s14
	v_addc_co_u32_e32 v6, vcc, 0, v1, vcc
	v_mov_b32_e32 v1, s6
	s_addc_u32 s7, 0, s7
	v_add_co_u32_e32 v3, vcc, s4, v1
	s_cmp_lg_u64 vcc, 0
	s_addc_u32 s6, s5, s7
	v_mad_u64_u32 v[1:2], s[4:5], v28, s6, 0
	v_mul_hi_u32 v4, v28, v3
	s_waitcnt lgkmcnt(0)
	s_barrier
	v_add_co_u32_e32 v7, vcc, v4, v1
	v_addc_co_u32_e32 v8, vcc, 0, v2, vcc
	v_mad_u64_u32 v[1:2], s[4:5], v6, v3, 0
	v_mad_u64_u32 v[3:4], s[4:5], v6, s6, 0
	v_add_co_u32_e32 v1, vcc, v7, v1
	v_addc_co_u32_e32 v1, vcc, v8, v2, vcc
	v_addc_co_u32_e32 v2, vcc, 0, v4, vcc
	v_add_co_u32_e32 v1, vcc, v1, v3
	v_addc_co_u32_e32 v3, vcc, 0, v2, vcc
	v_mad_u64_u32 v[1:2], s[4:5], v1, 25, 0
	v_mad_u64_u32 v[2:3], s[4:5], v3, 25, v[2:3]
	v_sub_co_u32_e32 v1, vcc, v28, v1
	v_subb_co_u32_e32 v2, vcc, v6, v2, vcc
	v_subrev_co_u32_e32 v3, vcc, 25, v1
	v_subbrev_co_u32_e32 v4, vcc, 0, v2, vcc
	v_cmp_lt_u32_e32 vcc, 24, v3
	v_cndmask_b32_e64 v6, 0, -1, vcc
	v_cmp_eq_u32_e32 vcc, 0, v4
	v_cndmask_b32_e32 v4, -1, v6, vcc
	v_subrev_u32_e32 v6, 25, v3
	v_cmp_ne_u32_e32 vcc, 0, v4
	v_cndmask_b32_e32 v3, v3, v6, vcc
	v_cmp_lt_u32_e32 vcc, 24, v1
	v_cndmask_b32_e64 v4, 0, -1, vcc
	v_cmp_eq_u32_e32 vcc, 0, v2
	v_cndmask_b32_e32 v2, -1, v4, vcc
	v_cmp_ne_u32_e32 vcc, 0, v2
	v_mul_lo_u16_e32 v2, 10, v5
	v_cndmask_b32_e32 v1, v1, v3, vcc
	v_sub_u16_e32 v29, v0, v2
	v_mul_u32_u24_e32 v1, 50, v1
	v_lshlrev_b32_e32 v0, 3, v29
	v_lshlrev_b32_e32 v31, 3, v1
	v_add_u32_e32 v32, 0, v0
	v_add_u32_e32 v27, v32, v31
	v_add3_u32 v30, 0, v31, v0
	ds_read2_b64 v[0:3], v27 offset0:5 offset1:10
	ds_read2_b64 v[12:15], v27 offset0:15 offset1:20
	;; [unrolled: 1-line block ×3, first 2 shown]
	ds_read_b64 v[18:19], v30
	ds_read_b64 v[16:17], v27 offset:360
	ds_read2_b64 v[4:7], v27 offset0:35 offset1:40
	v_cmp_gt_u16_e32 vcc, 5, v29
	s_waitcnt lgkmcnt(0)
	s_barrier
	s_and_saveexec_b64 s[4:5], vcc
	s_cbranch_execz .LBB0_16
; %bb.15:
	v_add_f32_e32 v40, v19, v3
	v_sub_f32_e32 v37, v13, v17
	v_sub_f32_e32 v38, v13, v9
	v_add_f32_e32 v40, v40, v15
	v_add_f32_e32 v44, v12, v16
	v_sub_f32_e32 v45, v9, v13
	v_add_f32_e32 v46, v13, v17
	v_add_f32_e32 v13, v1, v13
	;; [unrolled: 1-line block ×3, first 2 shown]
	v_sub_f32_e32 v33, v3, v15
	v_sub_f32_e32 v36, v12, v8
	;; [unrolled: 1-line block ×4, first 2 shown]
	v_add_f32_e32 v12, v0, v12
	v_add_f32_e32 v40, v40, v11
	;; [unrolled: 1-line block ×3, first 2 shown]
	v_sub_f32_e32 v49, v7, v11
	v_sub_f32_e32 v51, v9, v5
	v_add_f32_e32 v9, v9, v5
	v_fma_f32 v50, -0.5, v50, v0
	v_fma_f32 v0, -0.5, v44, v0
	v_add_f32_e32 v44, v3, v7
	v_add_f32_e32 v35, v15, v11
	v_sub_f32_e32 v42, v15, v3
	v_sub_f32_e32 v15, v15, v11
	;; [unrolled: 1-line block ×3, first 2 shown]
	v_fma_f32 v53, -0.5, v9, v1
	v_fma_f32 v9, -0.5, v46, v1
	v_sub_f32_e32 v46, v3, v7
	v_add_f32_e32 v40, v40, v7
	v_add_f32_e32 v7, v13, v5
	v_sub_f32_e32 v3, v16, v4
	v_add_f32_e32 v13, v33, v49
	v_fma_f32 v33, -0.5, v44, v19
	v_sub_f32_e32 v34, v14, v10
	v_add_f32_e32 v3, v36, v3
	v_mov_b32_e32 v36, v33
	v_add_f32_e32 v41, v18, v2
	v_sub_f32_e32 v1, v2, v6
	v_fmac_f32_e32 v36, 0xbf737871, v34
	v_fmac_f32_e32 v33, 0x3f737871, v34
	v_add_f32_e32 v41, v41, v14
	v_add_f32_e32 v11, v42, v11
	v_fmac_f32_e32 v36, 0x3f167918, v1
	v_fmac_f32_e32 v33, 0xbf167918, v1
	v_add_f32_e32 v41, v41, v10
	v_add_f32_e32 v12, v12, v8
	v_sub_f32_e32 v8, v8, v4
	v_fmac_f32_e32 v36, 0x3e9e377a, v11
	v_fmac_f32_e32 v33, 0x3e9e377a, v11
	v_mov_b32_e32 v11, v9
	v_sub_f32_e32 v47, v2, v14
	v_add_f32_e32 v48, v14, v10
	v_sub_f32_e32 v14, v14, v2
	v_sub_f32_e32 v52, v6, v10
	;; [unrolled: 1-line block ×3, first 2 shown]
	v_add_f32_e32 v2, v2, v6
	v_add_f32_e32 v41, v41, v6
	;; [unrolled: 1-line block ×3, first 2 shown]
	v_sub_f32_e32 v12, v17, v5
	v_sub_f32_e32 v5, v5, v17
	v_fmac_f32_e32 v11, 0xbf737871, v8
	v_fmac_f32_e32 v9, 0x3f737871, v8
	v_add_f32_e32 v5, v45, v5
	v_fmac_f32_e32 v11, 0x3f167918, v39
	v_fmac_f32_e32 v9, 0xbf167918, v39
	;; [unrolled: 1-line block ×4, first 2 shown]
	v_mov_b32_e32 v5, v0
	v_sub_f32_e32 v4, v4, v16
	v_fmac_f32_e32 v5, 0x3f737871, v51
	v_fmac_f32_e32 v0, 0xbf737871, v51
	v_add_f32_e32 v4, v43, v4
	v_fmac_f32_e32 v5, 0xbf167918, v37
	v_fmac_f32_e32 v0, 0x3f167918, v37
	v_fma_f32 v19, -0.5, v35, v19
	v_fmac_f32_e32 v5, 0x3e9e377a, v4
	v_fmac_f32_e32 v0, 0x3e9e377a, v4
	v_mov_b32_e32 v4, v19
	v_fmac_f32_e32 v4, 0x3f737871, v1
	v_fmac_f32_e32 v19, 0xbf737871, v1
	v_mov_b32_e32 v1, v53
	v_fmac_f32_e32 v1, 0x3f737871, v39
	v_fmac_f32_e32 v53, 0xbf737871, v39
	;; [unrolled: 1-line block ×4, first 2 shown]
	v_mov_b32_e32 v8, v50
	v_add_f32_e32 v12, v38, v12
	v_fmac_f32_e32 v8, 0xbf737871, v37
	v_fmac_f32_e32 v50, 0x3f737871, v37
	;; [unrolled: 1-line block ×7, first 2 shown]
	s_mov_b32 s6, 0x3f737871
	s_mov_b32 s15, 0xbf167918
	v_fmac_f32_e32 v8, 0x3e9e377a, v3
	v_fmac_f32_e32 v50, 0x3e9e377a, v3
	v_mul_f32_e32 v3, 0x3f4f1bbd, v1
	v_fma_f32 v34, -0.5, v48, v18
	v_fma_f32 v18, -0.5, v2, v18
	v_mul_f32_e32 v2, 0x3e9e377a, v5
	v_fmac_f32_e32 v53, 0x3e9e377a, v12
	s_mov_b32 s7, 0x3f167918
	v_fma_f32 v12, v8, s15, -v3
	v_mul_f32_e32 v3, 0x3f4f1bbd, v8
	v_fma_f32 v35, v11, s6, -v2
	v_mov_b32_e32 v37, v18
	v_fmac_f32_e32 v18, 0xbf737871, v15
	v_mul_f32_e32 v38, 0xbf737871, v0
	v_mov_b32_e32 v2, v34
	v_fmac_f32_e32 v34, 0x3f737871, v46
	v_fmac_f32_e32 v4, 0x3e9e377a, v13
	;; [unrolled: 1-line block ×3, first 2 shown]
	s_mov_b32 s14, 0xbf737871
	v_add_f32_e32 v13, v47, v52
	v_fma_f32 v8, v1, s7, -v3
	v_add_f32_e32 v10, v14, v10
	v_mul_f32_e32 v3, 0x3e9e377a, v11
	v_fmac_f32_e32 v37, 0x3f737871, v15
	v_fmac_f32_e32 v18, 0x3f167918, v46
	;; [unrolled: 1-line block ×3, first 2 shown]
	v_mul_f32_e32 v39, 0x3f737871, v9
	v_fmac_f32_e32 v2, 0xbf737871, v46
	v_fmac_f32_e32 v34, 0x3f167918, v15
	v_mul_f32_e32 v42, 0xbf167918, v50
	v_add_f32_e32 v44, v6, v16
	v_mul_f32_e32 v16, 0x3f4f1bbd, v50
	v_fma_f32 v14, v5, s14, -v3
	v_fmac_f32_e32 v37, 0xbf167918, v46
	v_fmac_f32_e32 v18, 0x3e9e377a, v10
	v_fmac_f32_e32 v39, 0x3e9e377a, v0
	v_fmac_f32_e32 v2, 0xbf167918, v15
	v_sub_f32_e32 v5, v33, v38
	v_fmac_f32_e32 v34, 0x3e9e377a, v13
	v_fmac_f32_e32 v42, 0x3f4f1bbd, v53
	v_add_f32_e32 v43, v7, v17
	v_fmac_f32_e32 v16, 0x3f167918, v53
	v_add_f32_e32 v15, v33, v38
	v_mul_u32_u24_e32 v33, 0x48, v29
	v_sub_f32_e32 v1, v4, v12
	v_sub_f32_e32 v3, v36, v14
	v_fmac_f32_e32 v37, 0x3e9e377a, v10
	v_fmac_f32_e32 v2, 0x3e9e377a, v13
	v_sub_f32_e32 v7, v19, v42
	v_add_f32_e32 v9, v4, v12
	v_sub_f32_e32 v4, v18, v39
	v_sub_f32_e32 v6, v34, v16
	v_add_f32_e32 v13, v36, v14
	v_add_f32_e32 v17, v19, v42
	;; [unrolled: 1-line block ×6, first 2 shown]
	v_add3_u32 v31, v32, v33, v31
	v_sub_f32_e32 v0, v2, v8
	v_add_f32_e32 v8, v2, v8
	v_sub_f32_e32 v11, v40, v43
	v_sub_f32_e32 v2, v37, v35
	;; [unrolled: 1-line block ×3, first 2 shown]
	v_add_f32_e32 v12, v37, v35
	ds_write2_b64 v31, v[18:19], v[16:17] offset1:1
	ds_write2_b64 v31, v[14:15], v[12:13] offset0:2 offset1:3
	ds_write2_b64 v31, v[8:9], v[10:11] offset0:4 offset1:5
	;; [unrolled: 1-line block ×4, first 2 shown]
.LBB0_16:
	s_or_b64 exec, exec, s[4:5]
	v_lshlrev_b32_e32 v8, 5, v29
	s_waitcnt lgkmcnt(0)
	s_barrier
	global_load_dwordx4 v[0:3], v8, s[18:19]
	global_load_dwordx4 v[4:7], v8, s[18:19] offset:16
	ds_read2_b32 v[16:17], v30 offset1:1
	ds_read2_b64 v[8:11], v27 offset0:10 offset1:20
	ds_read2_b64 v[12:15], v27 offset0:30 offset1:40
	v_mul_lo_u32 v18, v28, v29
	v_add_u32_e32 v19, 10, v29
	v_add_u32_e32 v30, 20, v29
	;; [unrolled: 1-line block ×3, first 2 shown]
	v_mul_lo_u32 v19, v28, v19
	v_mul_lo_u32 v30, v28, v30
	;; [unrolled: 1-line block ×3, first 2 shown]
	v_mov_b32_e32 v44, 3
	v_mov_b32_e32 v45, 0x1000
	v_lshlrev_b32_sdwa v36, v44, v18 dst_sel:DWORD dst_unused:UNUSED_PAD src0_sel:DWORD src1_sel:BYTE_0
	v_lshlrev_b32_sdwa v37, v44, v18 dst_sel:DWORD dst_unused:UNUSED_PAD src0_sel:DWORD src1_sel:BYTE_1
	v_bfe_u32 v18, v18, 16, 8
	v_lshl_or_b32 v38, v18, 3, v45
	v_lshlrev_b32_sdwa v39, v44, v19 dst_sel:DWORD dst_unused:UNUSED_PAD src0_sel:DWORD src1_sel:BYTE_0
	v_lshlrev_b32_sdwa v46, v44, v19 dst_sel:DWORD dst_unused:UNUSED_PAD src0_sel:DWORD src1_sel:BYTE_1
	v_bfe_u32 v40, v19, 16, 8
	v_lshlrev_b32_sdwa v47, v44, v30 dst_sel:DWORD dst_unused:UNUSED_PAD src0_sel:DWORD src1_sel:BYTE_0
	v_lshlrev_b32_sdwa v48, v44, v30 dst_sel:DWORD dst_unused:UNUSED_PAD src0_sel:DWORD src1_sel:BYTE_1
	v_bfe_u32 v41, v30, 16, 8
	;; [unrolled: 3-line block ×3, first 2 shown]
	global_load_dwordx2 v[18:19], v36, s[12:13]
	global_load_dwordx2 v[30:31], v37, s[12:13] offset:2048
	global_load_dwordx2 v[32:33], v38, s[12:13]
	global_load_dwordx2 v[34:35], v39, s[12:13]
	v_lshl_or_b32 v52, v40, 3, v45
	v_lshl_or_b32 v53, v41, 3, v45
	global_load_dwordx2 v[36:37], v46, s[12:13] offset:2048
	global_load_dwordx2 v[38:39], v52, s[12:13]
	global_load_dwordx2 v[40:41], v47, s[12:13]
	global_load_dwordx2 v[42:43], v48, s[12:13] offset:2048
	s_waitcnt vmcnt(9) lgkmcnt(1)
	v_mul_f32_e32 v46, v1, v9
	v_mul_f32_e32 v47, v1, v8
	;; [unrolled: 1-line block ×4, first 2 shown]
	s_waitcnt vmcnt(8) lgkmcnt(0)
	v_mul_f32_e32 v3, v5, v13
	v_mul_f32_e32 v52, v5, v12
	;; [unrolled: 1-line block ×3, first 2 shown]
	v_fma_f32 v55, v2, v10, -v1
	v_fma_f32 v56, v4, v12, -v3
	v_mul_f32_e32 v54, v7, v14
	v_fma_f32 v46, v0, v8, -v46
	v_fma_f32 v14, v6, v14, -v5
	v_add_f32_e32 v1, v55, v56
	v_fmac_f32_e32 v47, v0, v9
	v_fmac_f32_e32 v54, v6, v15
	v_add_f32_e32 v0, v46, v16
	v_add_f32_e32 v6, v46, v14
	v_fma_f32 v57, -0.5, v1, v16
	v_fmac_f32_e32 v48, v2, v11
	v_fmac_f32_e32 v52, v4, v13
	v_sub_f32_e32 v2, v47, v54
	v_add_f32_e32 v0, v0, v55
	v_fma_f32 v16, -0.5, v6, v16
	v_mov_b32_e32 v58, v57
	v_sub_f32_e32 v3, v48, v52
	v_sub_f32_e32 v4, v46, v55
	;; [unrolled: 1-line block ×3, first 2 shown]
	v_add_f32_e32 v0, v0, v56
	v_fmac_f32_e32 v57, 0xbf737871, v2
	v_mov_b32_e32 v59, v16
	v_fmac_f32_e32 v58, 0x3f737871, v2
	v_add_f32_e32 v4, v4, v5
	v_fmac_f32_e32 v16, 0x3f737871, v3
	v_add_f32_e32 v15, v0, v14
	v_fmac_f32_e32 v57, 0xbf167918, v3
	global_load_dwordx2 v[0:1], v53, s[12:13]
	v_fmac_f32_e32 v59, 0xbf737871, v3
	v_fmac_f32_e32 v58, 0x3f167918, v3
	;; [unrolled: 1-line block ×6, first 2 shown]
	global_load_dwordx2 v[2:3], v49, s[12:13]
	global_load_dwordx2 v[4:5], v50, s[12:13] offset:2048
	v_add_u32_e32 v9, 40, v29
	v_sub_f32_e32 v7, v55, v46
	v_sub_f32_e32 v8, v56, v14
	v_lshl_or_b32 v6, v51, 3, v45
	v_mul_lo_u32 v12, v28, v9
	v_add_f32_e32 v8, v7, v8
	global_load_dwordx2 v[6:7], v6, s[12:13]
	v_fmac_f32_e32 v59, 0x3e9e377a, v8
	v_fmac_f32_e32 v16, 0x3e9e377a, v8
	v_add_f32_e32 v8, v17, v47
	v_lshlrev_b32_sdwa v28, v44, v12 dst_sel:DWORD dst_unused:UNUSED_PAD src0_sel:DWORD src1_sel:BYTE_0
	v_add_f32_e32 v13, v8, v48
	v_lshlrev_b32_sdwa v29, v44, v12 dst_sel:DWORD dst_unused:UNUSED_PAD src0_sel:DWORD src1_sel:BYTE_1
	global_load_dwordx2 v[8:9], v28, s[12:13]
	global_load_dwordx2 v[10:11], v29, s[12:13] offset:2048
	v_bfe_u32 v12, v12, 16, 8
	v_lshl_or_b32 v12, v12, 3, v45
	v_add_f32_e32 v28, v13, v52
	global_load_dwordx2 v[12:13], v12, s[12:13]
	v_add_f32_e32 v29, v48, v52
	v_fma_f32 v29, -0.5, v29, v17
	v_sub_f32_e32 v14, v46, v14
	v_mov_b32_e32 v44, v29
	v_fmac_f32_e32 v44, 0xbf737871, v14
	v_sub_f32_e32 v45, v55, v56
	v_sub_f32_e32 v46, v47, v48
	;; [unrolled: 1-line block ×3, first 2 shown]
	v_fmac_f32_e32 v29, 0x3f737871, v14
	v_fmac_f32_e32 v44, 0xbf167918, v45
	v_add_f32_e32 v46, v46, v49
	v_fmac_f32_e32 v29, 0x3f167918, v45
	v_fmac_f32_e32 v44, 0x3e9e377a, v46
	;; [unrolled: 1-line block ×3, first 2 shown]
	v_add_f32_e32 v46, v47, v54
	v_fmac_f32_e32 v17, -0.5, v46
	v_mov_b32_e32 v46, v17
	v_fmac_f32_e32 v46, 0x3f737871, v45
	v_fmac_f32_e32 v17, 0xbf737871, v45
	;; [unrolled: 1-line block ×4, first 2 shown]
	s_waitcnt vmcnt(13)
	v_mul_f32_e32 v14, v19, v31
	v_fma_f32 v14, v18, v30, -v14
	v_mul_f32_e32 v18, v18, v31
	v_fmac_f32_e32 v18, v19, v30
	s_waitcnt vmcnt(12)
	v_mul_f32_e32 v30, v14, v33
	v_add_f32_e32 v28, v28, v54
	v_mul_f32_e32 v19, v18, v33
	v_fmac_f32_e32 v30, v32, v18
	v_fma_f32 v19, v32, v14, -v19
	v_mul_f32_e32 v14, v28, v30
	v_fma_f32 v14, v15, v19, -v14
	v_mul_f32_e32 v15, v15, v30
	s_waitcnt vmcnt(10)
	v_mul_f32_e32 v18, v35, v37
	v_fmac_f32_e32 v15, v28, v19
	v_fma_f32 v18, v34, v36, -v18
	v_mul_f32_e32 v19, v34, v37
	v_fmac_f32_e32 v19, v35, v36
	s_waitcnt vmcnt(9)
	v_mul_f32_e32 v30, v18, v39
	v_mul_f32_e32 v28, v19, v39
	v_fmac_f32_e32 v30, v38, v19
	v_fma_f32 v28, v38, v18, -v28
	v_mul_f32_e32 v18, v44, v30
	v_mul_f32_e32 v19, v58, v30
	s_waitcnt vmcnt(7)
	v_mul_f32_e32 v30, v40, v43
	v_fma_f32 v18, v58, v28, -v18
	v_fmac_f32_e32 v19, v44, v28
	v_mul_f32_e32 v28, v41, v43
	v_fmac_f32_e32 v30, v41, v42
	v_fma_f32 v28, v40, v42, -v28
	v_sub_f32_e32 v47, v48, v47
	v_sub_f32_e32 v48, v52, v54
	v_add_f32_e32 v47, v47, v48
	v_fmac_f32_e32 v17, 0x3e9e377a, v47
	s_waitcnt vmcnt(6)
	v_mul_f32_e32 v31, v30, v1
	v_fma_f32 v31, v0, v28, -v31
	v_mul_f32_e32 v1, v28, v1
	v_fmac_f32_e32 v46, 0x3e9e377a, v47
	v_fmac_f32_e32 v1, v0, v30
	v_mul_f32_e32 v0, v46, v1
	v_mul_f32_e32 v1, v59, v1
	s_waitcnt vmcnt(4)
	v_mul_f32_e32 v28, v3, v5
	v_fma_f32 v28, v2, v4, -v28
	v_mul_f32_e32 v2, v2, v5
	v_fmac_f32_e32 v2, v3, v4
	v_fma_f32 v0, v59, v31, -v0
	v_fmac_f32_e32 v1, v46, v31
	s_waitcnt vmcnt(3)
	v_mul_f32_e32 v3, v2, v7
	v_fma_f32 v4, v6, v28, -v3
	v_mul_f32_e32 v3, v28, v7
	v_fmac_f32_e32 v3, v6, v2
	v_mul_f32_e32 v2, v17, v3
	v_mul_f32_e32 v3, v16, v3
	v_fma_f32 v2, v16, v4, -v2
	v_fmac_f32_e32 v3, v17, v4
	s_waitcnt vmcnt(1)
	v_mul_f32_e32 v4, v9, v11
	v_fma_f32 v4, v8, v10, -v4
	v_mul_f32_e32 v5, v8, v11
	v_fmac_f32_e32 v5, v9, v10
	s_waitcnt vmcnt(0)
	v_mul_f32_e32 v7, v4, v13
	v_mul_f32_e32 v6, v5, v13
	v_fmac_f32_e32 v7, v12, v5
	v_fma_f32 v6, v12, v4, -v6
	v_mul_f32_e32 v4, v29, v7
	v_mul_f32_e32 v5, v57, v7
	v_fma_f32 v4, v57, v6, -v4
	v_fmac_f32_e32 v5, v29, v6
	s_barrier
	ds_write2_b64 v27, v[14:15], v[18:19] offset1:10
	ds_write2_b64 v27, v[0:1], v[2:3] offset0:20 offset1:30
	ds_write_b64 v27, v[4:5] offset:320
	s_waitcnt lgkmcnt(0)
	s_barrier
	s_and_saveexec_b64 s[4:5], s[0:1]
	s_cbranch_execz .LBB0_18
; %bb.17:
	v_mad_u64_u32 v[4:5], s[0:1], s10, v24, 0
	v_mad_u64_u32 v[6:7], s[0:1], s8, v25, 0
	v_mov_b32_e32 v0, v5
	v_mad_u64_u32 v[0:1], s[0:1], s11, v24, v[0:1]
	v_mov_b32_e32 v1, v7
	;; [unrolled: 2-line block ×3, first 2 shown]
	s_lshl_b64 s[0:1], s[2:3], 3
	v_mul_u32_u24_e32 v0, 0x190, v24
	s_add_u32 s0, s16, s0
	v_lshlrev_b64 v[4:5], 3, v[4:5]
	v_add3_u32 v8, 0, v0, v26
	s_addc_u32 s1, s17, s1
	v_mov_b32_e32 v7, v1
	ds_read2_b64 v[0:3], v8 offset1:10
	v_mov_b32_e32 v9, s1
	v_add_co_u32_e32 v10, vcc, s0, v4
	v_addc_co_u32_e32 v9, vcc, v9, v5, vcc
	v_lshlrev_b64 v[4:5], 3, v[6:7]
	v_mad_u64_u32 v[6:7], s[0:1], s8, v23, 0
	v_add_co_u32_e32 v4, vcc, v10, v4
	v_addc_co_u32_e32 v5, vcc, v9, v5, vcc
	s_waitcnt lgkmcnt(0)
	global_store_dwordx2 v[4:5], v[0:1], off
	v_mov_b32_e32 v0, v7
	v_mad_u64_u32 v[0:1], s[0:1], s9, v23, v[0:1]
	v_mad_u64_u32 v[4:5], s[0:1], s8, v22, 0
	v_mov_b32_e32 v7, v0
	v_lshlrev_b64 v[0:1], 3, v[6:7]
	v_mad_u64_u32 v[5:6], s[0:1], s9, v22, v[5:6]
	v_add_co_u32_e32 v0, vcc, v10, v0
	v_addc_co_u32_e32 v1, vcc, v9, v1, vcc
	global_store_dwordx2 v[0:1], v[2:3], off
	ds_read2_b64 v[0:3], v8 offset0:20 offset1:30
	v_lshlrev_b64 v[4:5], 3, v[4:5]
	v_mad_u64_u32 v[6:7], s[0:1], s8, v21, 0
	v_add_co_u32_e32 v4, vcc, v10, v4
	v_addc_co_u32_e32 v5, vcc, v9, v5, vcc
	s_waitcnt lgkmcnt(0)
	global_store_dwordx2 v[4:5], v[0:1], off
	v_mov_b32_e32 v0, v7
	v_mad_u64_u32 v[0:1], s[0:1], s9, v21, v[0:1]
	v_mad_u64_u32 v[4:5], s[0:1], s8, v20, 0
	v_mov_b32_e32 v7, v0
	v_lshlrev_b64 v[0:1], 3, v[6:7]
	v_mad_u64_u32 v[5:6], s[0:1], s9, v20, v[5:6]
	v_add_co_u32_e32 v0, vcc, v10, v0
	v_addc_co_u32_e32 v1, vcc, v9, v1, vcc
	global_store_dwordx2 v[0:1], v[2:3], off
	ds_read_b64 v[0:1], v8 offset:320
	v_lshlrev_b64 v[2:3], 3, v[4:5]
	v_add_co_u32_e32 v2, vcc, v10, v2
	v_addc_co_u32_e32 v3, vcc, v9, v3, vcc
	s_waitcnt lgkmcnt(0)
	global_store_dwordx2 v[2:3], v[0:1], off
.LBB0_18:
	s_endpgm
	.section	.rodata,"a",@progbits
	.p2align	6, 0x0
	.amdhsa_kernel fft_rtc_fwd_len50_factors_10_5_wgs_250_tpt_10_sp_ip_CI_sbcc_twdbase8_3step
		.amdhsa_group_segment_fixed_size 0
		.amdhsa_private_segment_fixed_size 0
		.amdhsa_kernarg_size 96
		.amdhsa_user_sgpr_count 6
		.amdhsa_user_sgpr_private_segment_buffer 1
		.amdhsa_user_sgpr_dispatch_ptr 0
		.amdhsa_user_sgpr_queue_ptr 0
		.amdhsa_user_sgpr_kernarg_segment_ptr 1
		.amdhsa_user_sgpr_dispatch_id 0
		.amdhsa_user_sgpr_flat_scratch_init 0
		.amdhsa_user_sgpr_private_segment_size 0
		.amdhsa_uses_dynamic_stack 0
		.amdhsa_system_sgpr_private_segment_wavefront_offset 0
		.amdhsa_system_sgpr_workgroup_id_x 1
		.amdhsa_system_sgpr_workgroup_id_y 0
		.amdhsa_system_sgpr_workgroup_id_z 0
		.amdhsa_system_sgpr_workgroup_info 0
		.amdhsa_system_vgpr_workitem_id 0
		.amdhsa_next_free_vgpr 60
		.amdhsa_next_free_sgpr 45
		.amdhsa_reserve_vcc 1
		.amdhsa_reserve_flat_scratch 0
		.amdhsa_float_round_mode_32 0
		.amdhsa_float_round_mode_16_64 0
		.amdhsa_float_denorm_mode_32 3
		.amdhsa_float_denorm_mode_16_64 3
		.amdhsa_dx10_clamp 1
		.amdhsa_ieee_mode 1
		.amdhsa_fp16_overflow 0
		.amdhsa_exception_fp_ieee_invalid_op 0
		.amdhsa_exception_fp_denorm_src 0
		.amdhsa_exception_fp_ieee_div_zero 0
		.amdhsa_exception_fp_ieee_overflow 0
		.amdhsa_exception_fp_ieee_underflow 0
		.amdhsa_exception_fp_ieee_inexact 0
		.amdhsa_exception_int_div_zero 0
	.end_amdhsa_kernel
	.text
.Lfunc_end0:
	.size	fft_rtc_fwd_len50_factors_10_5_wgs_250_tpt_10_sp_ip_CI_sbcc_twdbase8_3step, .Lfunc_end0-fft_rtc_fwd_len50_factors_10_5_wgs_250_tpt_10_sp_ip_CI_sbcc_twdbase8_3step
                                        ; -- End function
	.section	.AMDGPU.csdata,"",@progbits
; Kernel info:
; codeLenInByte = 4932
; NumSgprs: 49
; NumVgprs: 60
; ScratchSize: 0
; MemoryBound: 0
; FloatMode: 240
; IeeeMode: 1
; LDSByteSize: 0 bytes/workgroup (compile time only)
; SGPRBlocks: 6
; VGPRBlocks: 14
; NumSGPRsForWavesPerEU: 49
; NumVGPRsForWavesPerEU: 60
; Occupancy: 4
; WaveLimiterHint : 1
; COMPUTE_PGM_RSRC2:SCRATCH_EN: 0
; COMPUTE_PGM_RSRC2:USER_SGPR: 6
; COMPUTE_PGM_RSRC2:TRAP_HANDLER: 0
; COMPUTE_PGM_RSRC2:TGID_X_EN: 1
; COMPUTE_PGM_RSRC2:TGID_Y_EN: 0
; COMPUTE_PGM_RSRC2:TGID_Z_EN: 0
; COMPUTE_PGM_RSRC2:TIDIG_COMP_CNT: 0
	.type	__hip_cuid_aea4b4109f8c716,@object ; @__hip_cuid_aea4b4109f8c716
	.section	.bss,"aw",@nobits
	.globl	__hip_cuid_aea4b4109f8c716
__hip_cuid_aea4b4109f8c716:
	.byte	0                               ; 0x0
	.size	__hip_cuid_aea4b4109f8c716, 1

	.ident	"AMD clang version 19.0.0git (https://github.com/RadeonOpenCompute/llvm-project roc-6.4.0 25133 c7fe45cf4b819c5991fe208aaa96edf142730f1d)"
	.section	".note.GNU-stack","",@progbits
	.addrsig
	.addrsig_sym __hip_cuid_aea4b4109f8c716
	.amdgpu_metadata
---
amdhsa.kernels:
  - .args:
      - .actual_access:  read_only
        .address_space:  global
        .offset:         0
        .size:           8
        .value_kind:     global_buffer
      - .address_space:  global
        .offset:         8
        .size:           8
        .value_kind:     global_buffer
      - .offset:         16
        .size:           8
        .value_kind:     by_value
      - .actual_access:  read_only
        .address_space:  global
        .offset:         24
        .size:           8
        .value_kind:     global_buffer
      - .actual_access:  read_only
        .address_space:  global
        .offset:         32
        .size:           8
        .value_kind:     global_buffer
      - .offset:         40
        .size:           8
        .value_kind:     by_value
      - .actual_access:  read_only
        .address_space:  global
        .offset:         48
        .size:           8
        .value_kind:     global_buffer
      - .actual_access:  read_only
        .address_space:  global
        .offset:         56
        .size:           8
        .value_kind:     global_buffer
      - .offset:         64
        .size:           4
        .value_kind:     by_value
      - .actual_access:  read_only
        .address_space:  global
        .offset:         72
        .size:           8
        .value_kind:     global_buffer
      - .actual_access:  read_only
        .address_space:  global
        .offset:         80
        .size:           8
        .value_kind:     global_buffer
      - .address_space:  global
        .offset:         88
        .size:           8
        .value_kind:     global_buffer
    .group_segment_fixed_size: 0
    .kernarg_segment_align: 8
    .kernarg_segment_size: 96
    .language:       OpenCL C
    .language_version:
      - 2
      - 0
    .max_flat_workgroup_size: 250
    .name:           fft_rtc_fwd_len50_factors_10_5_wgs_250_tpt_10_sp_ip_CI_sbcc_twdbase8_3step
    .private_segment_fixed_size: 0
    .sgpr_count:     49
    .sgpr_spill_count: 0
    .symbol:         fft_rtc_fwd_len50_factors_10_5_wgs_250_tpt_10_sp_ip_CI_sbcc_twdbase8_3step.kd
    .uniform_work_group_size: 1
    .uses_dynamic_stack: false
    .vgpr_count:     60
    .vgpr_spill_count: 0
    .wavefront_size: 64
amdhsa.target:   amdgcn-amd-amdhsa--gfx906
amdhsa.version:
  - 1
  - 2
...

	.end_amdgpu_metadata
